;; amdgpu-corpus repo=triton-lang/triton kind=triton arch=gfx1201 opt=O3 lang=triton
	.amdgcn_target "amdgcn-amd-amdhsa--gfx1201"
	.amdhsa_code_object_version 5
	.text
	.globl	_layer_norm_bwd_dx_fused        ; -- Begin function _layer_norm_bwd_dx_fused
	.p2align	8
	.type	_layer_norm_bwd_dx_fused,@function
_layer_norm_bwd_dx_fused:               ; @_layer_norm_bwd_dx_fused
.Lfunc_begin0:
	.file	1 "/root/src/amdgpu-assembly/repos/triton-lang__triton-aot" "layer_norm_bwd.py"
	.loc	1 8 0                           ; layer_norm_bwd.py:8:0
	.cfi_sections .debug_frame
	.cfi_startproc
; %bb.0:
	s_load_b64 s[24:25], s[0:1], 0x48
.Ltmp0:
	.loc	1 22 24 prologue_end            ; layer_norm_bwd.py:22:24
	v_and_b32_e32 v18, 31, v0
	.loc	1 69 25                         ; layer_norm_bwd.py:69:25
	s_bfe_u32 s30, ttmp8, 0x50019
	s_load_b256 s[8:15], s[0:1], 0x20
	.loc	1 22 24                         ; layer_norm_bwd.py:22:24
	s_lshl_b32 s2, s30, 5
	s_mov_b32 s19, 0x31027000
	v_and_or_b32 v1, 0x60, s2, v18
	s_load_b64 s[2:3], s[0:1], 0x8
	s_mov_b32 s18, 0x7ffffffe
	.loc	1 35 17                         ; layer_norm_bwd.py:35:17
	s_mov_b32 s23, s19
	s_mov_b32 s22, s18
	.loc	1 22 24                         ; layer_norm_bwd.py:22:24
	v_or_b32_e32 v3, 0x80, v1
	v_or_b32_e32 v4, 0x100, v1
	;; [unrolled: 1-line block ×5, first 2 shown]
	.loc	1 34 16                         ; layer_norm_bwd.py:34:16
	v_lshlrev_b32_e32 v10, 2, v3
	.loc	1 22 24                         ; layer_norm_bwd.py:22:24
	v_or_b32_e32 v8, 0x300, v1
	v_or_b32_e32 v9, 0x380, v1
	.loc	1 34 16                         ; layer_norm_bwd.py:34:16
	v_lshlrev_b32_e32 v2, 2, v1
	.loc	1 24 15                         ; layer_norm_bwd.py:24:15
	s_wait_kmcnt 0x0
	s_mul_i32 s4, s24, ttmp9
	.loc	1 23 18                         ; layer_norm_bwd.py:23:18
	v_cmp_gt_i32_e32 vcc_lo, s25, v1
	.loc	1 24 9                          ; layer_norm_bwd.py:24:9
	s_ashr_i32 s5, s4, 31
	.loc	1 34 16                         ; layer_norm_bwd.py:34:16
	v_lshlrev_b32_e32 v11, 2, v4
	.loc	1 24 9                          ; layer_norm_bwd.py:24:9
	s_lshl_b64 s[28:29], s[4:5], 2
	.loc	1 34 16                         ; layer_norm_bwd.py:34:16
	v_lshlrev_b32_e32 v1, 2, v5
	.loc	1 23 18                         ; layer_norm_bwd.py:23:18
	v_cmp_gt_i32_e64 s4, s25, v5
	.loc	1 25 10                         ; layer_norm_bwd.py:25:10
	s_add_nc_u64 s[20:21], s[2:3], s[28:29]
	.loc	1 23 18                         ; layer_norm_bwd.py:23:18
	v_cmp_gt_i32_e64 s2, s25, v3
	v_cmp_gt_i32_e64 s3, s25, v4
	;; [unrolled: 1-line block ×3, first 2 shown]
	.loc	1 34 16                         ; layer_norm_bwd.py:34:16
	v_cndmask_b32_e32 v2, 0x80000000, v2, vcc_lo
	.loc	1 24 9                          ; layer_norm_bwd.py:24:9
	s_add_nc_u64 s[16:17], s[8:9], s[28:29]
	.loc	1 34 16                         ; layer_norm_bwd.py:34:16
	s_wait_alu depctr_va_sdst(0)
	v_cndmask_b32_e64 v3, 0x80000000, v10, s2
	v_lshlrev_b32_e32 v10, 2, v6
	v_cndmask_b32_e64 v4, 0x80000000, v11, s3
	v_cndmask_b32_e64 v5, 0x80000000, v1, s4
	v_lshlrev_b32_e32 v1, 2, v7
	v_lshlrev_b32_e32 v11, 2, v9
	v_cndmask_b32_e64 v6, 0x80000000, v10, s5
	v_lshlrev_b32_e32 v10, 2, v8
	.loc	1 23 18                         ; layer_norm_bwd.py:23:18
	v_cmp_gt_i32_e64 s6, s25, v7
	v_cmp_gt_i32_e64 s7, s25, v8
	v_cmp_gt_i32_e64 s8, s25, v9
	.loc	1 34 16                         ; layer_norm_bwd.py:34:16
	s_and_b32 s17, s17, 0xffff
	.loc	1 35 17                         ; layer_norm_bwd.py:35:17
	s_and_b32 s21, s21, 0xffff
	.loc	1 34 16                         ; layer_norm_bwd.py:34:16
	v_cndmask_b32_e64 v7, 0x80000000, v1, s6
	v_cndmask_b32_e64 v8, 0x80000000, v10, s7
	;; [unrolled: 1-line block ×3, first 2 shown]
	s_clause 0x7
	buffer_load_b32 v1, v2, s[16:19], null offen
	buffer_load_b32 v19, v3, s[16:19], null offen
	;; [unrolled: 1-line block ×8, first 2 shown]
	.loc	1 36 16                         ; layer_norm_bwd.py:36:16
	s_and_b32 s17, s11, 0xffff
	s_mov_b32 s16, s10
	buffer_load_b32 v26, v3, s[16:19], null offen
	.loc	1 35 17                         ; layer_norm_bwd.py:35:17
	s_clause 0x1
	buffer_load_b32 v10, v3, s[20:23], null offen
	buffer_load_b32 v11, v2, s[20:23], null offen
	.loc	1 36 16                         ; layer_norm_bwd.py:36:16
	s_clause 0x1
	buffer_load_b32 v27, v2, s[16:19], null offen
	;; [unrolled: 4-line block ×7, first 2 shown]
	buffer_load_b32 v17, v9, s[20:23], null offen
	.loc	1 36 16                         ; layer_norm_bwd.py:36:16
	buffer_load_b32 v33, v9, s[16:19], null offen
	.loc	1 37 26                         ; layer_norm_bwd.py:37:26
	s_mov_b32 s26, ttmp9
	s_ashr_i32 s27, ttmp9, 31
	s_delay_alu instid0(SALU_CYCLE_1) | instskip(NEXT) | instid1(SALU_CYCLE_1)
	s_lshl_b64 s[10:11], s[26:27], 2
	s_add_nc_u64 s[12:13], s[12:13], s[10:11]
	.loc	1 38 26                         ; layer_norm_bwd.py:38:26
	s_add_nc_u64 s[10:11], s[14:15], s[10:11]
	.loc	1 37 19                         ; layer_norm_bwd.py:37:19
	s_load_b32 s9, s[12:13], 0x0
	.loc	1 38 19                         ; layer_norm_bwd.py:38:19
	s_load_b32 s14, s[10:11], 0x0
	.loc	1 41 14                         ; layer_norm_bwd.py:41:14
	s_wait_loadcnt 0xe
	s_wait_kmcnt 0x0
	v_dual_mul_f32 v26, v10, v26 :: v_dual_subrev_f32 v1, s9, v1
	.loc	1 40 24                         ; layer_norm_bwd.py:40:24
	v_dual_subrev_f32 v19, s9, v19 :: v_dual_subrev_f32 v20, s9, v20
	.loc	1 41 14                         ; layer_norm_bwd.py:41:14
	s_wait_loadcnt 0xc
	v_dual_mul_f32 v34, v11, v27 :: v_dual_subrev_f32 v21, s9, v21
	s_delay_alu instid0(VALU_DEP_3) | instskip(NEXT) | instid1(VALU_DEP_3)
	.loc	1 40 24                         ; layer_norm_bwd.py:40:24
	v_mul_f32_e32 v1, s14, v1
	v_mul_f32_e32 v19, s14, v19
	v_subrev_f32_e32 v25, s9, v25
	.loc	1 43 30                         ; layer_norm_bwd.py:43:30
	v_cndmask_b32_e64 v27, 0, v26, s2
	.loc	1 40 24                         ; layer_norm_bwd.py:40:24
	v_dual_subrev_f32 v22, s9, v22 :: v_dual_mul_f32 v35, s14, v20
	s_delay_alu instid0(VALU_DEP_4)
	.loc	1 42 32                         ; layer_norm_bwd.py:42:32
	v_cndmask_b32_e64 v19, 0, v19, s2
	.loc	1 41 14                         ; layer_norm_bwd.py:41:14
	s_wait_loadcnt 0xa
	v_mul_f32_e32 v26, v12, v28
	.loc	1 43 30                         ; layer_norm_bwd.py:43:30
	v_cndmask_b32_e32 v28, 0, v34, vcc_lo
	.loc	1 42 32                         ; layer_norm_bwd.py:42:32
	v_cndmask_b32_e32 v20, 0, v1, vcc_lo
	.loc	1 40 24                         ; layer_norm_bwd.py:40:24
	v_dual_mul_f32 v36, s14, v21 :: v_dual_mul_f32 v1, v27, v19
	.loc	1 42 32                         ; layer_norm_bwd.py:42:32
	v_cndmask_b32_e64 v21, 0, v35, s3
	.loc	1 40 24                         ; layer_norm_bwd.py:40:24
	s_wait_loadcnt 0x8
	v_dual_mul_f32 v35, s14, v22 :: v_dual_mul_f32 v34, v13, v29
	.loc	1 43 30                         ; layer_norm_bwd.py:43:30
	v_cndmask_b32_e64 v29, 0, v26, s3
.Ltmp1:
	.file	2 "/root/.local/lib/python3.13/site-packages/triton/language" "standard.py"
	.loc	2 263 15                        ; standard.py:263:15 @[ standard.py:293:36 @[ layer_norm_bwd.py:44:16 ] ]
	v_fmac_f32_e32 v1, v28, v20
.Ltmp2:
	.loc	1 40 24                         ; layer_norm_bwd.py:40:24
	s_wait_loadcnt 0x6
	v_dual_subrev_f32 v23, s9, v23 :: v_dual_mul_f32 v26, v14, v30
	.loc	1 43 30                         ; layer_norm_bwd.py:43:30
	v_cndmask_b32_e64 v30, 0, v34, s4
	.loc	1 42 32                         ; layer_norm_bwd.py:42:32
	v_cndmask_b32_e64 v22, 0, v36, s4
.Ltmp3:
	.loc	2 263 15                        ; standard.py:263:15 @[ standard.py:293:36 @[ layer_norm_bwd.py:44:16 ] ]
	v_dual_fmac_f32 v1, v29, v21 :: v_dual_subrev_f32 v24, s9, v24
.Ltmp4:
	.loc	1 41 14                         ; layer_norm_bwd.py:41:14
	s_wait_loadcnt 0x4
	v_mul_f32_e32 v34, v15, v31
	.loc	1 40 24                         ; layer_norm_bwd.py:40:24
	v_mul_f32_e32 v36, s14, v23
	.loc	1 43 30                         ; layer_norm_bwd.py:43:30
	v_cndmask_b32_e64 v31, 0, v26, s5
	.loc	1 42 32                         ; layer_norm_bwd.py:42:32
	v_cndmask_b32_e64 v23, 0, v35, s5
.Ltmp5:
	.loc	2 263 15                        ; standard.py:263:15 @[ standard.py:293:36 @[ layer_norm_bwd.py:44:16 ] ]
	s_wait_loadcnt 0x2
	v_dual_fmac_f32 v1, v30, v22 :: v_dual_mul_f32 v26, v16, v32
.Ltmp6:
	.loc	1 40 24                         ; layer_norm_bwd.py:40:24
	v_mul_f32_e32 v35, s14, v24
	.loc	1 43 30                         ; layer_norm_bwd.py:43:30
	v_cndmask_b32_e64 v32, 0, v34, s6
	.loc	1 42 32                         ; layer_norm_bwd.py:42:32
	v_cndmask_b32_e64 v24, 0, v36, s6
.Ltmp7:
	.loc	2 263 15                        ; standard.py:263:15 @[ standard.py:293:36 @[ layer_norm_bwd.py:44:16 ] ]
	s_wait_loadcnt 0x0
	v_dual_fmac_f32 v1, v31, v23 :: v_dual_mul_f32 v34, v17, v33
.Ltmp8:
	.loc	1 43 30                         ; layer_norm_bwd.py:43:30
	v_cndmask_b32_e64 v33, 0, v26, s7
.Ltmp9:
	.loc	2 293 36                        ; standard.py:293:36 @[ layer_norm_bwd.py:44:16 ]
	v_cmp_eq_u32_e32 vcc_lo, 0, v18
	s_and_b32 s3, s30, 3
	s_delay_alu instid0(VALU_DEP_3)
.Ltmp10:
	.loc	2 263 15                        ; standard.py:263:15 @[ standard.py:293:36 @[ layer_norm_bwd.py:44:16 ] ]
	v_fmac_f32_e32 v1, v32, v24
.Ltmp11:
	.loc	1 43 30                         ; layer_norm_bwd.py:43:30
	v_cndmask_b32_e64 v34, 0, v34, s8
	.loc	1 40 24                         ; layer_norm_bwd.py:40:24
	v_mul_f32_e32 v36, s14, v25
	.loc	1 42 32                         ; layer_norm_bwd.py:42:32
	v_cndmask_b32_e64 v25, 0, v35, s7
.Ltmp12:
	.loc	2 293 36                        ; standard.py:293:36 @[ layer_norm_bwd.py:44:16 ]
	s_wait_alu depctr_sa_sdst(0)
	s_lshl2_add_u32 s4, s3, 0
	s_delay_alu instid0(VALU_DEP_2) | instskip(NEXT) | instid1(VALU_DEP_2)
.Ltmp13:
	.loc	1 42 32                         ; layer_norm_bwd.py:42:32
	v_cndmask_b32_e64 v26, 0, v36, s8
.Ltmp14:
	.loc	2 263 15                        ; standard.py:263:15 @[ standard.py:293:36 @[ layer_norm_bwd.py:44:16 ] ]
	v_fmac_f32_e32 v1, v33, v25
	s_delay_alu instid0(VALU_DEP_1) | instskip(NEXT) | instid1(VALU_DEP_1)
	v_fmac_f32_e32 v1, v34, v26
	v_add_f32_dpp v1, v1, v1 row_shr:8 row_mask:0xf bank_mask:0xf bound_ctrl:1
	s_delay_alu instid0(VALU_DEP_1) | instskip(NEXT) | instid1(VALU_DEP_1)
	v_add_f32_dpp v1, v1, v1 row_shr:4 row_mask:0xf bank_mask:0xf bound_ctrl:1
	v_add_f32_dpp v1, v1, v1 row_shr:2 row_mask:0xf bank_mask:0xf bound_ctrl:1
	s_delay_alu instid0(VALU_DEP_1) | instskip(NEXT) | instid1(VALU_DEP_1)
	v_add_f32_dpp v1, v1, v1 row_shr:1 row_mask:0xf bank_mask:0xf bound_ctrl:1
.Ltmp15:
	.loc	2 293 36                        ; standard.py:293:36 @[ layer_norm_bwd.py:44:16 ]
	v_permlanex16_b32 v35, v1, -1, -1 op_sel:[1,0]
	s_delay_alu instid0(VALU_DEP_1) | instskip(NEXT) | instid1(VALU_DEP_1)
.Ltmp16:
	.loc	2 263 15                        ; standard.py:263:15 @[ standard.py:293:36 @[ layer_norm_bwd.py:44:16 ] ]
	v_add_f32_e32 v1, v1, v35
.Ltmp17:
	.loc	2 293 36                        ; standard.py:293:36 @[ layer_norm_bwd.py:44:16 ]
	v_readlane_b32 s2, v1, 31
	s_and_saveexec_b32 s3, vcc_lo
; %bb.1:
	s_wait_alu depctr_sa_sdst(0)
	v_mov_b32_e32 v1, s4
	s_wait_alu depctr_va_sdst(0)
	v_mov_b32_e32 v35, s2
	ds_store_b32 v1, v35
; %bb.2:
	.loc	2 0 36 is_stmt 0                ; standard.py:0:36
	s_or_b32 exec_lo, exec_lo, s3
	.loc	2 293 36                        ; standard.py:293:36 @[ layer_norm_bwd.py:44:16 ]
	s_wait_dscnt 0x0
	s_barrier_signal -1
	v_cmp_gt_u32_e64 s2, 4, v0
	v_lshl_add_u32 v1, v0, 2, 0
	v_mov_b32_e32 v35, 0
	s_barrier_wait -1
	global_inv scope:SCOPE_SE
	s_and_saveexec_b32 s3, s2
; %bb.3:
	ds_load_b32 v35, v1
; %bb.4:
	.loc	2 0 36                          ; standard.py:0:36
	s_wait_alu depctr_sa_sdst(0)
	s_or_b32 exec_lo, exec_lo, s3
	.loc	2 293 36                        ; standard.py:293:36 @[ layer_norm_bwd.py:44:16 ]
	s_wait_dscnt 0x0
	v_dual_mov_b32 v36, v35 :: v_dual_and_b32 v37, 3, v0
	s_delay_alu instid0(VALU_DEP_1) | instskip(NEXT) | instid1(VALU_DEP_2)
	v_mov_b32_dpp v36, v36 quad_perm:[2,3,0,1] row_mask:0xf bank_mask:0xf
	v_cmp_eq_u32_e64 s3, 0, v37
	s_delay_alu instid0(VALU_DEP_2) | instskip(SKIP_1) | instid1(VALU_DEP_1)
.Ltmp18:
	.loc	2 263 15 is_stmt 1              ; standard.py:263:15 @[ standard.py:293:36 @[ layer_norm_bwd.py:44:16 ] ]
	v_add_f32_e32 v35, v35, v36
.Ltmp19:
	.loc	2 293 36                        ; standard.py:293:36 @[ layer_norm_bwd.py:44:16 ]
	s_and_b32 s3, s2, s3
	v_mov_b32_e32 v36, v35
	s_delay_alu instid0(VALU_DEP_1)
	v_mov_b32_dpp v36, v36 quad_perm:[1,0,3,2] row_mask:0xf bank_mask:0xf
	s_wait_alu depctr_sa_sdst(0)
	s_and_saveexec_b32 s5, s3
; %bb.5:
	.loc	2 0 36 is_stmt 0                ; standard.py:0:36
	s_delay_alu instid0(VALU_DEP_1)
	v_add_f32_e32 v35, v35, v36
	.loc	2 293 36                        ; standard.py:293:36 @[ layer_norm_bwd.py:44:16 ]
	ds_store_b32 v1, v35
; %bb.6:
	.loc	2 0 36                          ; standard.py:0:36
	s_wait_alu depctr_sa_sdst(0)
	s_or_b32 exec_lo, exec_lo, s5
	.loc	2 293 36                        ; standard.py:293:36 @[ layer_norm_bwd.py:44:16 ]
	s_wait_loadcnt_dscnt 0x0
	s_barrier_signal -1
	v_dual_mov_b32 v36, 0 :: v_dual_add_f32 v37, v28, v27
	s_delay_alu instid0(VALU_DEP_1) | instskip(NEXT) | instid1(VALU_DEP_1)
.Ltmp20:
	.loc	2 263 15 is_stmt 1              ; standard.py:263:15 @[ standard.py:293:36 @[ layer_norm_bwd.py:45:16 ] ]
	v_add_f32_e32 v37, v37, v29
	v_add_f32_e32 v37, v37, v30
.Ltmp21:
	.loc	2 293 36                        ; standard.py:293:36 @[ layer_norm_bwd.py:44:16 ]
	s_barrier_wait -1
	global_inv scope:SCOPE_SE
	ds_load_b32 v35, v36
.Ltmp22:
	.loc	2 263 15                        ; standard.py:263:15 @[ standard.py:293:36 @[ layer_norm_bwd.py:45:16 ] ]
	v_add_f32_e32 v37, v37, v31
	s_delay_alu instid0(VALU_DEP_1) | instskip(NEXT) | instid1(VALU_DEP_1)
	v_add_f32_e32 v37, v37, v32
	v_add_f32_e32 v37, v37, v33
	s_delay_alu instid0(VALU_DEP_1) | instskip(NEXT) | instid1(VALU_DEP_1)
	v_add_f32_e32 v37, v37, v34
	v_add_f32_dpp v37, v37, v37 row_shr:8 row_mask:0xf bank_mask:0xf bound_ctrl:1
	s_delay_alu instid0(VALU_DEP_1) | instskip(NEXT) | instid1(VALU_DEP_1)
	v_add_f32_dpp v37, v37, v37 row_shr:4 row_mask:0xf bank_mask:0xf bound_ctrl:1
	v_add_f32_dpp v37, v37, v37 row_shr:2 row_mask:0xf bank_mask:0xf bound_ctrl:1
	s_delay_alu instid0(VALU_DEP_1) | instskip(NEXT) | instid1(VALU_DEP_1)
	v_add_f32_dpp v37, v37, v37 row_shr:1 row_mask:0xf bank_mask:0xf bound_ctrl:1
.Ltmp23:
	.loc	2 293 36                        ; standard.py:293:36 @[ layer_norm_bwd.py:45:16 ]
	v_permlanex16_b32 v38, v37, -1, -1 op_sel:[1,0]
	s_delay_alu instid0(VALU_DEP_1) | instskip(NEXT) | instid1(VALU_DEP_1)
.Ltmp24:
	.loc	2 263 15                        ; standard.py:263:15 @[ standard.py:293:36 @[ layer_norm_bwd.py:45:16 ] ]
	v_add_f32_e32 v37, v37, v38
.Ltmp25:
	.loc	2 293 36                        ; standard.py:293:36 @[ layer_norm_bwd.py:45:16 ]
	v_readlane_b32 s6, v37, 31
	s_wait_loadcnt_dscnt 0x0
	s_barrier_signal -1
	s_barrier_wait -1
	global_inv scope:SCOPE_SE
	s_and_saveexec_b32 s5, vcc_lo
; %bb.7:
	s_wait_alu depctr_va_sdst(0)
	v_dual_mov_b32 v37, s4 :: v_dual_mov_b32 v38, s6
	ds_store_b32 v37, v38
; %bb.8:
	.loc	2 0 36 is_stmt 0                ; standard.py:0:36
	s_wait_alu depctr_sa_sdst(0)
	s_or_b32 exec_lo, exec_lo, s5
	.loc	2 293 36                        ; standard.py:293:36 @[ layer_norm_bwd.py:45:16 ]
	s_wait_loadcnt_dscnt 0x0
	s_barrier_signal -1
	s_barrier_wait -1
	global_inv scope:SCOPE_SE
	s_and_saveexec_b32 s4, s2
; %bb.9:
	ds_load_b32 v36, v1
; %bb.10:
	.loc	2 0 36                          ; standard.py:0:36
	s_wait_alu depctr_sa_sdst(0)
	s_or_b32 exec_lo, exec_lo, s4
	.loc	2 293 36                        ; standard.py:293:36 @[ layer_norm_bwd.py:45:16 ]
	s_wait_dscnt 0x0
	v_mov_b32_e32 v37, v36
	s_clause 0x1
	s_load_b64 s[12:13], s[0:1], 0x40
	s_load_b64 s[8:9], s[0:1], 0x0
	s_delay_alu instid0(VALU_DEP_1) | instskip(NEXT) | instid1(VALU_DEP_1)
	v_mov_b32_dpp v37, v37 quad_perm:[2,3,0,1] row_mask:0xf bank_mask:0xf
.Ltmp26:
	.loc	2 263 15 is_stmt 1              ; standard.py:263:15 @[ standard.py:293:36 @[ layer_norm_bwd.py:45:16 ] ]
	v_add_f32_e32 v36, v36, v37
	s_delay_alu instid0(VALU_DEP_1) | instskip(NEXT) | instid1(VALU_DEP_1)
.Ltmp27:
	.loc	2 293 36                        ; standard.py:293:36 @[ layer_norm_bwd.py:45:16 ]
	v_mov_b32_e32 v37, v36
	v_mov_b32_dpp v37, v37 quad_perm:[1,0,3,2] row_mask:0xf bank_mask:0xf
	s_and_saveexec_b32 s2, s3
; %bb.11:
	.loc	2 0 36 is_stmt 0                ; standard.py:0:36
	s_delay_alu instid0(VALU_DEP_1)
	v_add_f32_e32 v36, v36, v37
	.loc	2 293 36                        ; standard.py:293:36 @[ layer_norm_bwd.py:45:16 ]
	ds_store_b32 v1, v36
; %bb.12:
	.loc	2 0 36                          ; standard.py:0:36
	s_wait_alu depctr_sa_sdst(0)
	s_or_b32 exec_lo, exec_lo, s2
	.loc	2 293 36                        ; standard.py:293:36 @[ layer_norm_bwd.py:45:16 ]
	s_wait_loadcnt_dscnt 0x0
	s_barrier_signal -1
	v_mov_b32_e32 v1, 0
.Ltmp28:
	.loc	1 44 38 is_stmt 1               ; layer_norm_bwd.py:44:38
	s_cvt_f32_i32 s15, s25
	s_load_b128 s[4:7], s[0:1], 0x10
	.loc	1 28 20                         ; layer_norm_bwd.py:28:20
	s_lshr_b32 s0, s27, 26
	.loc	1 26 10                         ; layer_norm_bwd.py:26:10
	s_wait_kmcnt 0x0
	s_add_nc_u64 s[8:9], s[8:9], s[28:29]
	.loc	1 44 38                         ; layer_norm_bwd.py:44:38
	v_div_scale_f32 v37, null, s15, s15, v35
	v_div_scale_f32 v43, vcc_lo, v35, s15, v35
	.loc	1 28 20                         ; layer_norm_bwd.py:28:20
	s_add_co_i32 s0, ttmp9, s0
	.loc	1 44 38                         ; layer_norm_bwd.py:44:38
	v_rcp_f32_e32 v39, v37
	v_xor_b32_e32 v37, 0x80000000, v37
	.loc	1 28 20                         ; layer_norm_bwd.py:28:20
	s_and_not1_b32 s0, s0, 63
	s_mov_b32 s11, 0x31027000
	s_mov_b32 s10, 0x7ffffffe
.Ltmp29:
	.loc	2 293 36                        ; standard.py:293:36 @[ layer_norm_bwd.py:45:16 ]
	s_barrier_wait -1
	global_inv scope:SCOPE_SE
	ds_load_b32 v36, v1
.Ltmp30:
	.loc	1 48 24                         ; layer_norm_bwd.py:48:24
	s_wait_alu depctr_sa_sdst(0)
	s_and_b32 s9, s9, 0xffff
	.loc	1 44 38                         ; layer_norm_bwd.py:44:38
	v_fma_f32 v41, v37, v39, 1.0
	.loc	1 45 31                         ; layer_norm_bwd.py:45:31
	s_wait_dscnt 0x0
	v_div_scale_f32 v38, null, s15, s15, v36
	s_delay_alu instid0(VALU_DEP_1)
	v_rcp_f32_e32 v40, v38
	v_xor_b32_e32 v38, 0x80000000, v38
	s_delay_alu instid0(TRANS32_DEP_1) | instid1(VALU_DEP_1)
	v_fma_f32 v42, v38, v40, 1.0
	s_delay_alu instid0(VALU_DEP_1) | instskip(SKIP_1) | instid1(VALU_DEP_1)
	v_dual_fmac_f32 v40, v42, v40 :: v_dual_fmac_f32 v39, v41, v39
	v_div_scale_f32 v41, s2, v36, s15, v36
	v_mul_f32_e32 v44, v41, v40
	s_delay_alu instid0(VALU_DEP_1) | instskip(NEXT) | instid1(VALU_DEP_1)
	v_fma_f32 v46, v38, v44, v41
	v_fmac_f32_e32 v44, v46, v40
	s_delay_alu instid0(VALU_DEP_1) | instskip(NEXT) | instid1(VALU_DEP_1)
	.loc	1 44 38                         ; layer_norm_bwd.py:44:38
	v_dual_mul_f32 v42, v43, v39 :: v_dual_fmac_f32 v41, v38, v44
	v_fma_f32 v45, v37, v42, v43
	s_delay_alu instid0(VALU_DEP_1) | instskip(NEXT) | instid1(VALU_DEP_1)
	v_fmac_f32_e32 v42, v45, v39
	v_fmac_f32_e32 v43, v37, v42
	s_wait_alu depctr_va_vcc(0)
	s_delay_alu instid0(VALU_DEP_1)
	v_div_fmas_f32 v37, v43, v39, v42
	.loc	1 45 31                         ; layer_norm_bwd.py:45:31
	s_mov_b32 vcc_lo, s2
	.loc	1 28 20                         ; layer_norm_bwd.py:28:20
	s_sub_co_i32 s2, ttmp9, s0
	.loc	1 45 31                         ; layer_norm_bwd.py:45:31
	s_wait_alu depctr_sa_sdst(0)
	v_div_fmas_f32 v38, v41, v40, v44
	.loc	1 29 12                         ; layer_norm_bwd.py:29:12
	s_ashr_i32 s3, s2, 31
	.loc	1 44 38                         ; layer_norm_bwd.py:44:38
	v_div_fixup_f32 v35, v37, s15, v35
	v_cmp_eq_u32_e64 s0, 0, v0
	v_mov_b32_e32 v0, 1
	.loc	1 45 31                         ; layer_norm_bwd.py:45:31
	v_div_fixup_f32 v36, v38, s15, v36
	.loc	1 29 12                         ; layer_norm_bwd.py:29:12
	s_wait_alu depctr_sa_sdst(0)
	s_lshl_b64 s[16:17], s[2:3], 2
	s_delay_alu instid0(SALU_CYCLE_1) | instskip(NEXT) | instid1(VALU_DEP_1)
	s_add_nc_u64 s[12:13], s[12:13], s[16:17]
	.loc	1 46 29                         ; layer_norm_bwd.py:46:29
	v_fma_f32 v37, v20, v35, v36
	v_fma_f32 v39, v21, v35, v36
	;; [unrolled: 1-line block ×7, first 2 shown]
	.loc	1 46 17 is_stmt 0               ; layer_norm_bwd.py:46:17
	v_dual_sub_f32 v28, v28, v37 :: v_dual_sub_f32 v29, v29, v39
	.loc	1 46 29                         ; layer_norm_bwd.py:46:29
	v_dual_fmac_f32 v36, v26, v35 :: v_dual_sub_f32 v27, v27, v38
	s_delay_alu instid0(VALU_DEP_3) | instskip(SKIP_1) | instid1(VALU_DEP_3)
	.loc	1 46 17                         ; layer_norm_bwd.py:46:17
	v_dual_sub_f32 v30, v30, v40 :: v_dual_sub_f32 v33, v33, v43
	v_dual_sub_f32 v31, v31, v41 :: v_dual_sub_f32 v32, v32, v42
	.loc	1 46 36                         ; layer_norm_bwd.py:46:36
	v_dual_mul_f32 v27, s14, v27 :: v_dual_mul_f32 v28, s14, v28
	s_delay_alu instid0(VALU_DEP_3) | instskip(SKIP_1) | instid1(VALU_DEP_4)
	v_mul_f32_e32 v33, s14, v33
	v_dual_mul_f32 v29, s14, v29 :: v_dual_sub_f32 v34, v34, v36
	v_dual_mul_f32 v31, s14, v31 :: v_dual_mul_f32 v30, s14, v30
	v_mul_f32_e32 v32, s14, v32
	s_delay_alu instid0(VALU_DEP_3)
	v_mul_f32_e32 v34, s14, v34
	.loc	1 48 24 is_stmt 1               ; layer_norm_bwd.py:48:24
	s_clause 0x7
	buffer_store_b32 v28, v2, s[8:11], null offen
	buffer_store_b32 v27, v3, s[8:11], null offen
	;; [unrolled: 1-line block ×8, first 2 shown]
	s_branch .LBB0_14
.LBB0_13:                               ;   in Loop: Header=BB0_14 Depth=1
	.loc	1 0 24 is_stmt 0                ; layer_norm_bwd.py:0:24
	s_or_b32 exec_lo, exec_lo, s1
	.loc	1 52 33 is_stmt 1               ; layer_norm_bwd.py:52:33
	s_wait_loadcnt_dscnt 0x0
	s_barrier_signal -1
	s_barrier_wait -1
	global_inv scope:SCOPE_SE
	ds_load_b32 v27, v1
	.loc	1 52 39 is_stmt 0               ; layer_norm_bwd.py:52:39
	s_wait_dscnt 0x0
	v_cmp_eq_u32_e32 vcc_lo, 1, v27
	s_cbranch_vccz .LBB0_16
.LBB0_14:                               ; =>This Inner Loop Header: Depth=1
	.loc	1 52 33 is_stmt 1               ; layer_norm_bwd.py:52:33
	s_wait_loadcnt 0x0
	s_wait_storecnt 0x0
	s_barrier_signal -1
	s_barrier_wait -1
	global_inv scope:SCOPE_SE
	s_and_saveexec_b32 s1, s0
	s_cbranch_execz .LBB0_13
; %bb.15:                               ;   in Loop: Header=BB0_14 Depth=1
	s_wait_loadcnt 0x0
	global_atomic_cmpswap_b32 v27, v1, v[0:1], s[12:13] th:TH_ATOMIC_RETURN scope:SCOPE_DEV
	s_wait_loadcnt 0x0
	global_inv scope:SCOPE_DEV
	ds_store_b32 v1, v27
	s_branch .LBB0_13
.LBB0_16:
	.loc	1 54 20                         ; layer_norm_bwd.py:54:20
	v_dual_mov_b32 v0, 0 :: v_dual_mul_f32 v1, v10, v19
	v_or_b32_e32 v27, s30, v18
	.loc	1 31 24                         ; layer_norm_bwd.py:31:24
	s_mul_i32 s0, s25, s2
	.loc	1 50 23                         ; layer_norm_bwd.py:50:23
	v_mul_f32_e32 v18, v15, v24
	.loc	1 54 20                         ; layer_norm_bwd.py:54:20
	global_load_b32 v28, v0, s[12:13] offset:256
	.loc	1 31 14                         ; layer_norm_bwd.py:31:14
	s_ashr_i32 s1, s0, 31
	.loc	1 50 23                         ; layer_norm_bwd.py:50:23
	v_dual_mul_f32 v0, v11, v20 :: v_dual_mul_f32 v19, v12, v21
	v_dual_mul_f32 v20, v13, v22 :: v_dual_mul_f32 v21, v14, v23
	v_dual_mul_f32 v22, v16, v25 :: v_dual_mul_f32 v23, v17, v26
	v_cmp_eq_u32_e64 s8, 0, v27
	.loc	1 31 14                         ; layer_norm_bwd.py:31:14
	s_lshl_b64 s[2:3], s[0:1], 2
	s_wait_alu depctr_sa_sdst(0)
	s_add_nc_u64 s[0:1], s[4:5], s[2:3]
	.loc	1 32 14                         ; layer_norm_bwd.py:32:14
	s_add_nc_u64 s[4:5], s[6:7], s[2:3]
	s_mov_b32 s2, 0
	.loc	1 56 16                         ; layer_norm_bwd.py:56:16
	s_wait_loadcnt 0x0
	v_cmp_ne_u32_e32 vcc_lo, 0, v28
	.loc	1 56 7 is_stmt 0                ; layer_norm_bwd.py:56:7
	s_cbranch_vccz .LBB0_18
; %bb.17:
	.loc	1 59 30 is_stmt 1               ; layer_norm_bwd.py:59:30
	s_and_b32 s17, s1, 0xffff
	s_mov_b32 s19, 0x31027000
	s_mov_b32 s18, 0x7ffffffe
	;; [unrolled: 1-line block ×3, first 2 shown]
	s_clause 0x7
	buffer_load_b32 v24, v2, s[16:19], null offen
	buffer_load_b32 v25, v3, s[16:19], null offen
	;; [unrolled: 1-line block ×8, first 2 shown]
	.loc	1 60 30                         ; layer_norm_bwd.py:60:30
	s_and_b32 s17, s5, 0xffff
	s_mov_b32 s16, s4
	s_clause 0x7
	buffer_load_b32 v33, v2, s[16:19], null offen
	buffer_load_b32 v41, v3, s[16:19], null offen
	;; [unrolled: 1-line block ×8, first 2 shown]
	.loc	1 59 22                         ; layer_norm_bwd.py:59:22
	s_wait_loadcnt 0xe
	v_dual_add_f32 v34, v0, v24 :: v_dual_add_f32 v35, v1, v25
	s_wait_loadcnt 0xc
	v_dual_add_f32 v36, v19, v26 :: v_dual_add_f32 v37, v20, v28
	;; [unrolled: 2-line block ×4, first 2 shown]
	.loc	1 60 22                         ; layer_norm_bwd.py:60:22
	s_wait_loadcnt 0x5
	v_dual_add_f32 v26, v11, v33 :: v_dual_add_f32 v29, v12, v42
	s_wait_loadcnt 0x1
	v_dual_add_f32 v28, v10, v41 :: v_dual_add_f32 v33, v16, v46
	v_dual_add_f32 v30, v13, v43 :: v_dual_add_f32 v31, v14, v44
	v_add_f32_e32 v32, v15, v45
	s_wait_loadcnt 0x0
	v_add_f32_e32 v24, v17, v47
	s_and_not1_b32 vcc_lo, exec_lo, s2
	s_wait_alu depctr_sa_sdst(0)
	s_cbranch_vccz .LBB0_19
	s_branch .LBB0_22
.LBB0_18:
                                        ; implicit-def: $sgpr8
                                        ; implicit-def: $vgpr24
                                        ; implicit-def: $vgpr33
                                        ; implicit-def: $vgpr32
                                        ; implicit-def: $vgpr31
                                        ; implicit-def: $vgpr30
                                        ; implicit-def: $vgpr29
                                        ; implicit-def: $vgpr28
                                        ; implicit-def: $vgpr26
                                        ; implicit-def: $vgpr25
                                        ; implicit-def: $vgpr40
                                        ; implicit-def: $vgpr39
                                        ; implicit-def: $vgpr38
                                        ; implicit-def: $vgpr37
                                        ; implicit-def: $vgpr36
                                        ; implicit-def: $vgpr35
                                        ; implicit-def: $vgpr34
.LBB0_19:
	.loc	1 0 22 is_stmt 0                ; layer_norm_bwd.py:0:22
	s_mov_b32 s8, 0
	.loc	1 30 19 is_stmt 1               ; layer_norm_bwd.py:30:19
	s_mov_b32 s2, exec_lo
	.loc	1 57 30                         ; layer_norm_bwd.py:57:30
	v_cmpx_eq_u32_e32 0, v27
	.loc	1 30 19                         ; layer_norm_bwd.py:30:19
	s_cbranch_execz .LBB0_21
; %bb.20:
	v_dual_mov_b32 v24, 0 :: v_dual_mov_b32 v25, 1
	s_mov_b32 s8, exec_lo
	global_atomic_swap_b32 v24, v25, s[12:13] offset:256 scope:SCOPE_DEV
	s_wait_storecnt 0x0
	global_inv scope:SCOPE_DEV
.LBB0_21:                               ; %Flow
	.loc	1 0 19 is_stmt 0                ; layer_norm_bwd.py:0:19
	s_wait_alu depctr_sa_sdst(0)
	s_or_b32 exec_lo, exec_lo, s2
	v_dual_mov_b32 v34, v0 :: v_dual_mov_b32 v35, v1
	v_dual_mov_b32 v36, v19 :: v_dual_mov_b32 v37, v20
	;; [unrolled: 1-line block ×7, first 2 shown]
	v_mov_b32_e32 v32, v15
	v_mov_b32_e32 v24, v17
.LBB0_22:
	s_mov_b32 s3, 0x31027000
	s_mov_b32 s2, 0x7ffffffe
	.loc	1 61 17 is_stmt 1               ; layer_norm_bwd.py:61:17
	s_and_b32 s1, s1, 0xffff
	.loc	1 62 17                         ; layer_norm_bwd.py:62:17
	s_and_b32 s5, s5, 0xffff
	s_wait_alu depctr_sa_sdst(0)
	s_mov_b32 s6, s2
	s_mov_b32 s7, s3
	.loc	1 61 17                         ; layer_norm_bwd.py:61:17
	s_clause 0x7
	buffer_store_b32 v34, v2, s[0:3], null offen
	buffer_store_b32 v35, v3, s[0:3], null offen
	;; [unrolled: 1-line block ×8, first 2 shown]
	.loc	1 62 17                         ; layer_norm_bwd.py:62:17
	s_clause 0x7
	buffer_store_b32 v26, v2, s[4:7], null offen
	buffer_store_b32 v28, v3, s[4:7], null offen
	;; [unrolled: 1-line block ×8, first 2 shown]
	.loc	1 66 4                          ; layer_norm_bwd.py:66:4
	s_wait_loadcnt 0x0
	s_wait_storecnt 0x0
	s_barrier_signal -1
	s_barrier_wait -1
	global_inv scope:SCOPE_SE
	.loc	1 29 12                         ; layer_norm_bwd.py:29:12
	s_and_saveexec_b32 s0, s8
	s_cbranch_execz .LBB0_24
; %bb.23:
	v_mov_b32_e32 v0, 0
	s_wait_loadcnt 0x0
	global_atomic_swap_b32 v0, v0, s[12:13] scope:SCOPE_DEV
	s_wait_storecnt 0x0
	global_inv scope:SCOPE_DEV
.LBB0_24:
	.loc	1 69 4                          ; layer_norm_bwd.py:69:4
	s_endpgm
.Ltmp31:
	.section	.rodata,"a",@progbits
	.p2align	6, 0x0
	.amdhsa_kernel _layer_norm_bwd_dx_fused
		.amdhsa_group_segment_fixed_size 0
		.amdhsa_private_segment_fixed_size 0
		.amdhsa_kernarg_size 96
		.amdhsa_user_sgpr_count 2
		.amdhsa_user_sgpr_dispatch_ptr 0
		.amdhsa_user_sgpr_queue_ptr 0
		.amdhsa_user_sgpr_kernarg_segment_ptr 1
		.amdhsa_user_sgpr_dispatch_id 0
		.amdhsa_user_sgpr_private_segment_size 0
		.amdhsa_wavefront_size32 1
		.amdhsa_uses_dynamic_stack 0
		.amdhsa_enable_private_segment 0
		.amdhsa_system_sgpr_workgroup_id_x 1
		.amdhsa_system_sgpr_workgroup_id_y 1
		.amdhsa_system_sgpr_workgroup_id_z 1
		.amdhsa_system_sgpr_workgroup_info 0
		.amdhsa_system_vgpr_workitem_id 0
		.amdhsa_next_free_vgpr 48
		.amdhsa_next_free_sgpr 31
		.amdhsa_reserve_vcc 1
		.amdhsa_float_round_mode_32 0
		.amdhsa_float_round_mode_16_64 0
		.amdhsa_float_denorm_mode_32 3
		.amdhsa_float_denorm_mode_16_64 3
		.amdhsa_fp16_overflow 0
		.amdhsa_workgroup_processor_mode 1
		.amdhsa_memory_ordered 1
		.amdhsa_forward_progress 1
		.amdhsa_inst_pref_size 26
		.amdhsa_round_robin_scheduling 0
		.amdhsa_exception_fp_ieee_invalid_op 0
		.amdhsa_exception_fp_denorm_src 0
		.amdhsa_exception_fp_ieee_div_zero 0
		.amdhsa_exception_fp_ieee_overflow 0
		.amdhsa_exception_fp_ieee_underflow 0
		.amdhsa_exception_fp_ieee_inexact 0
		.amdhsa_exception_int_div_zero 0
	.end_amdhsa_kernel
	.text
.Lfunc_end0:
	.size	_layer_norm_bwd_dx_fused, .Lfunc_end0-_layer_norm_bwd_dx_fused
	.cfi_endproc
                                        ; -- End function
	.set _layer_norm_bwd_dx_fused.num_vgpr, 48
	.set _layer_norm_bwd_dx_fused.num_agpr, 0
	.set _layer_norm_bwd_dx_fused.numbered_sgpr, 31
	.set _layer_norm_bwd_dx_fused.num_named_barrier, 0
	.set _layer_norm_bwd_dx_fused.private_seg_size, 0
	.set _layer_norm_bwd_dx_fused.uses_vcc, 1
	.set _layer_norm_bwd_dx_fused.uses_flat_scratch, 0
	.set _layer_norm_bwd_dx_fused.has_dyn_sized_stack, 0
	.set _layer_norm_bwd_dx_fused.has_recursion, 0
	.set _layer_norm_bwd_dx_fused.has_indirect_call, 0
	.section	.AMDGPU.csdata,"",@progbits
; Kernel info:
; codeLenInByte = 3224
; TotalNumSgprs: 33
; NumVgprs: 48
; ScratchSize: 0
; MemoryBound: 0
; FloatMode: 240
; IeeeMode: 1
; LDSByteSize: 0 bytes/workgroup (compile time only)
; SGPRBlocks: 0
; VGPRBlocks: 5
; NumSGPRsForWavesPerEU: 33
; NumVGPRsForWavesPerEU: 48
; Occupancy: 16
; WaveLimiterHint : 0
; COMPUTE_PGM_RSRC2:SCRATCH_EN: 0
; COMPUTE_PGM_RSRC2:USER_SGPR: 2
; COMPUTE_PGM_RSRC2:TRAP_HANDLER: 0
; COMPUTE_PGM_RSRC2:TGID_X_EN: 1
; COMPUTE_PGM_RSRC2:TGID_Y_EN: 1
; COMPUTE_PGM_RSRC2:TGID_Z_EN: 1
; COMPUTE_PGM_RSRC2:TIDIG_COMP_CNT: 0
	.text
	.p2alignl 7, 3214868480
	.fill 96, 4, 3214868480
	.section	.AMDGPU.gpr_maximums,"",@progbits
	.set amdgpu.max_num_vgpr, 0
	.set amdgpu.max_num_agpr, 0
	.set amdgpu.max_num_sgpr, 0
	.set amdgpu.max_num_named_barrier, 0
	.text
	.section	.debug_abbrev,"",@progbits
	.byte	1                               ; Abbreviation Code
	.byte	17                              ; DW_TAG_compile_unit
	.byte	1                               ; DW_CHILDREN_yes
	.byte	37                              ; DW_AT_producer
	.byte	14                              ; DW_FORM_strp
	.byte	19                              ; DW_AT_language
	.byte	5                               ; DW_FORM_data2
	.byte	3                               ; DW_AT_name
	.byte	14                              ; DW_FORM_strp
	.byte	16                              ; DW_AT_stmt_list
	.byte	23                              ; DW_FORM_sec_offset
	.byte	27                              ; DW_AT_comp_dir
	.byte	14                              ; DW_FORM_strp
	.byte	17                              ; DW_AT_low_pc
	.byte	1                               ; DW_FORM_addr
	.byte	18                              ; DW_AT_high_pc
	.byte	6                               ; DW_FORM_data4
	.byte	0                               ; EOM(1)
	.byte	0                               ; EOM(2)
	.byte	2                               ; Abbreviation Code
	.byte	46                              ; DW_TAG_subprogram
	.byte	0                               ; DW_CHILDREN_no
	.byte	3                               ; DW_AT_name
	.byte	14                              ; DW_FORM_strp
	.byte	32                              ; DW_AT_inline
	.byte	11                              ; DW_FORM_data1
	.byte	0                               ; EOM(1)
	.byte	0                               ; EOM(2)
	.byte	3                               ; Abbreviation Code
	.byte	46                              ; DW_TAG_subprogram
	.byte	1                               ; DW_CHILDREN_yes
	.byte	17                              ; DW_AT_low_pc
	.byte	1                               ; DW_FORM_addr
	.byte	18                              ; DW_AT_high_pc
	.byte	6                               ; DW_FORM_data4
	.byte	49                              ; DW_AT_abstract_origin
	.byte	19                              ; DW_FORM_ref4
	.byte	0                               ; EOM(1)
	.byte	0                               ; EOM(2)
	.byte	4                               ; Abbreviation Code
	.byte	29                              ; DW_TAG_inlined_subroutine
	.byte	1                               ; DW_CHILDREN_yes
	.byte	49                              ; DW_AT_abstract_origin
	.byte	19                              ; DW_FORM_ref4
	.byte	85                              ; DW_AT_ranges
	.byte	23                              ; DW_FORM_sec_offset
	.byte	88                              ; DW_AT_call_file
	.byte	11                              ; DW_FORM_data1
	.byte	89                              ; DW_AT_call_line
	.byte	11                              ; DW_FORM_data1
	.byte	87                              ; DW_AT_call_column
	.byte	11                              ; DW_FORM_data1
	.byte	0                               ; EOM(1)
	.byte	0                               ; EOM(2)
	.byte	5                               ; Abbreviation Code
	.byte	29                              ; DW_TAG_inlined_subroutine
	.byte	0                               ; DW_CHILDREN_no
	.byte	49                              ; DW_AT_abstract_origin
	.byte	19                              ; DW_FORM_ref4
	.byte	85                              ; DW_AT_ranges
	.byte	23                              ; DW_FORM_sec_offset
	.byte	88                              ; DW_AT_call_file
	.byte	11                              ; DW_FORM_data1
	.byte	89                              ; DW_AT_call_line
	.byte	5                               ; DW_FORM_data2
	.byte	87                              ; DW_AT_call_column
	.byte	11                              ; DW_FORM_data1
	.byte	0                               ; EOM(1)
	.byte	0                               ; EOM(2)
	;; [unrolled: 1-line block ×3, first 2 shown]
	.section	.debug_info,"",@progbits
.Lcu_begin0:
	.long	.Ldebug_info_end0-.Ldebug_info_start0 ; Length of Unit
.Ldebug_info_start0:
	.short	4                               ; DWARF version number
	.long	.debug_abbrev                   ; Offset Into Abbrev. Section
	.byte	8                               ; Address Size (in bytes)
	.byte	1                               ; Abbrev [1] 0xb:0x6c DW_TAG_compile_unit
	.long	.Linfo_string0                  ; DW_AT_producer
	.short	2                               ; DW_AT_language
	.long	.Linfo_string1                  ; DW_AT_name
	.long	.Lline_table_start0             ; DW_AT_stmt_list
	.long	.Linfo_string2                  ; DW_AT_comp_dir
	.quad	.Lfunc_begin0                   ; DW_AT_low_pc
	.long	.Lfunc_end0-.Lfunc_begin0       ; DW_AT_high_pc
	.byte	2                               ; Abbrev [2] 0x2a:0x6 DW_TAG_subprogram
	.long	.Linfo_string3                  ; DW_AT_name
	.byte	1                               ; DW_AT_inline
	.byte	3                               ; Abbrev [3] 0x30:0x46 DW_TAG_subprogram
	.quad	.Lfunc_begin0                   ; DW_AT_low_pc
	.long	.Lfunc_end0-.Lfunc_begin0       ; DW_AT_high_pc
	.long	42                              ; DW_AT_abstract_origin
	.byte	4                               ; Abbrev [4] 0x41:0x1a DW_TAG_inlined_subroutine
	.long	42                              ; DW_AT_abstract_origin
	.long	.Ldebug_ranges0                 ; DW_AT_ranges
	.byte	1                               ; DW_AT_call_file
	.byte	44                              ; DW_AT_call_line
	.byte	16                              ; DW_AT_call_column
	.byte	5                               ; Abbrev [5] 0x4d:0xd DW_TAG_inlined_subroutine
	.long	42                              ; DW_AT_abstract_origin
	.long	.Ldebug_ranges1                 ; DW_AT_ranges
	.byte	2                               ; DW_AT_call_file
	.short	293                             ; DW_AT_call_line
	.byte	36                              ; DW_AT_call_column
	.byte	0                               ; End Of Children Mark
	.byte	4                               ; Abbrev [4] 0x5b:0x1a DW_TAG_inlined_subroutine
	.long	42                              ; DW_AT_abstract_origin
	.long	.Ldebug_ranges2                 ; DW_AT_ranges
	.byte	1                               ; DW_AT_call_file
	.byte	45                              ; DW_AT_call_line
	.byte	16                              ; DW_AT_call_column
	.byte	5                               ; Abbrev [5] 0x67:0xd DW_TAG_inlined_subroutine
	.long	42                              ; DW_AT_abstract_origin
	.long	.Ldebug_ranges3                 ; DW_AT_ranges
	.byte	2                               ; DW_AT_call_file
	.short	293                             ; DW_AT_call_line
	.byte	36                              ; DW_AT_call_column
	.byte	0                               ; End Of Children Mark
	.byte	0                               ; End Of Children Mark
	;; [unrolled: 1-line block ×3, first 2 shown]
.Ldebug_info_end0:
	.section	.debug_ranges,"",@progbits
.Ldebug_ranges0:
	.quad	.Ltmp1-.Lfunc_begin0
	.quad	.Ltmp2-.Lfunc_begin0
	;; [unrolled: 1-line block ×16, first 2 shown]
	.quad	0
	.quad	0
.Ldebug_ranges1:
	.quad	.Ltmp1-.Lfunc_begin0
	.quad	.Ltmp2-.Lfunc_begin0
	;; [unrolled: 1-line block ×16, first 2 shown]
	.quad	0
	.quad	0
.Ldebug_ranges2:
	.quad	.Ltmp20-.Lfunc_begin0
	.quad	.Ltmp21-.Lfunc_begin0
	;; [unrolled: 1-line block ×6, first 2 shown]
	.quad	0
	.quad	0
.Ldebug_ranges3:
	.quad	.Ltmp20-.Lfunc_begin0
	.quad	.Ltmp21-.Lfunc_begin0
	;; [unrolled: 1-line block ×8, first 2 shown]
	.quad	0
	.quad	0
	.section	.debug_str,"MS",@progbits,1
.Linfo_string0:
	.asciz	"triton"                        ; string offset=0
.Linfo_string1:
	.asciz	"layer_norm_bwd.py"             ; string offset=7
.Linfo_string2:
	.asciz	"/root/src/amdgpu-assembly/repos/triton-lang__triton-aot" ; string offset=25
.Linfo_string3:
	.asciz	"_layer_norm_bwd_dx_fused"      ; string offset=81
	.section	".note.GNU-stack","",@progbits
	.amdgpu_metadata
---
amdhsa.kernels:
  - .args:
      - .address_space:  global
        .offset:         0
        .size:           8
        .value_kind:     global_buffer
      - .address_space:  global
        .offset:         8
        .size:           8
        .value_kind:     global_buffer
      - .address_space:  global
        .offset:         16
        .size:           8
        .value_kind:     global_buffer
      - .address_space:  global
        .offset:         24
        .size:           8
        .value_kind:     global_buffer
      - .address_space:  global
        .offset:         32
        .size:           8
        .value_kind:     global_buffer
      - .address_space:  global
        .offset:         40
        .size:           8
        .value_kind:     global_buffer
      - .address_space:  global
        .offset:         48
        .size:           8
        .value_kind:     global_buffer
      - .address_space:  global
        .offset:         56
        .size:           8
        .value_kind:     global_buffer
      - .address_space:  global
        .offset:         64
        .size:           8
        .value_kind:     global_buffer
      - .offset:         72
        .size:           4
        .value_kind:     by_value
      - .offset:         76
        .size:           4
        .value_kind:     by_value
      - .address_space:  global
        .offset:         80
        .size:           8
        .value_kind:     global_buffer
      - .address_space:  global
        .offset:         88
        .size:           8
        .value_kind:     global_buffer
    .group_segment_fixed_size: 0
    .kernarg_segment_align: 8
    .kernarg_segment_size: 96
    .max_flat_workgroup_size: 128
    .name:           _layer_norm_bwd_dx_fused
    .private_segment_fixed_size: 0
    .sgpr_count:     33
    .sgpr_spill_count: 0
    .symbol:         _layer_norm_bwd_dx_fused.kd
    .uniform_work_group_size: 1
    .uses_dynamic_stack: false
    .vgpr_count:     48
    .vgpr_spill_count: 0
    .wavefront_size: 32
    .workgroup_processor_mode: 1
amdhsa.target:   amdgcn-amd-amdhsa--gfx1201
amdhsa.version:
  - 1
  - 2
...

	.end_amdgpu_metadata
	.section	.debug_line,"",@progbits
.Lline_table_start0:
